;; amdgpu-corpus repo=ROCm/rocFFT kind=compiled arch=gfx906 opt=O3
	.text
	.amdgcn_target "amdgcn-amd-amdhsa--gfx906"
	.amdhsa_code_object_version 6
	.protected	fft_rtc_back_len81_factors_3_3_3_3_wgs_243_tpt_27_sp_op_CI_CI_sbrc_xy_z_aligned_dirReg ; -- Begin function fft_rtc_back_len81_factors_3_3_3_3_wgs_243_tpt_27_sp_op_CI_CI_sbrc_xy_z_aligned_dirReg
	.globl	fft_rtc_back_len81_factors_3_3_3_3_wgs_243_tpt_27_sp_op_CI_CI_sbrc_xy_z_aligned_dirReg
	.p2align	8
	.type	fft_rtc_back_len81_factors_3_3_3_3_wgs_243_tpt_27_sp_op_CI_CI_sbrc_xy_z_aligned_dirReg,@function
fft_rtc_back_len81_factors_3_3_3_3_wgs_243_tpt_27_sp_op_CI_CI_sbrc_xy_z_aligned_dirReg: ; @fft_rtc_back_len81_factors_3_3_3_3_wgs_243_tpt_27_sp_op_CI_CI_sbrc_xy_z_aligned_dirReg
; %bb.0:
	s_load_dwordx4 s[12:15], s[4:5], 0x10
	s_mov_b32 s7, 0
	s_mov_b32 s29, s7
	s_mov_b64 s[30:31], 0
	s_waitcnt lgkmcnt(0)
	s_load_dwordx4 s[20:23], s[12:13], 0x8
	s_load_dwordx2 s[24:25], s[4:5], 0x0
	s_waitcnt lgkmcnt(0)
	s_add_i32 s0, s22, -1
	s_mul_hi_u32 s0, s0, 0x38e38e39
	s_lshr_b32 s0, s0, 1
	s_add_i32 s0, s0, 1
	s_mul_i32 s28, s0, s20
	v_cvt_f32_u32_e32 v1, s28
	s_load_dwordx4 s[0:3], s[4:5], 0x58
	s_load_dwordx2 s[26:27], s[4:5], 0x20
	s_load_dwordx4 s[16:19], s[14:15], 0x0
	s_load_dwordx2 s[22:23], s[14:15], 0x10
	s_waitcnt lgkmcnt(0)
	s_load_dwordx4 s[8:11], s[26:27], 0x0
	s_load_dwordx2 s[12:13], s[26:27], 0x10
	v_rcp_iflag_f32_e32 v1, v1
	s_waitcnt lgkmcnt(0)
	s_sub_i32 s11, 0, s28
	v_mul_f32_e32 v1, 0x4f7ffffe, v1
	v_cvt_u32_f32_e32 v3, v1
	v_mov_b32_e32 v1, s20
	v_mov_b32_e32 v2, s21
	v_readfirstlane_b32 s13, v3
	s_mul_i32 s11, s11, s13
	s_mul_hi_u32 s11, s13, s11
	s_add_i32 s13, s13, s11
	s_mul_hi_u32 s11, s6, s13
	s_mul_i32 s13, s11, s28
	s_sub_i32 s13, s6, s13
	s_add_i32 s19, s11, 1
	s_sub_i32 s23, s13, s28
	s_cmp_ge_u32 s13, s28
	s_cselect_b32 s11, s19, s11
	s_cselect_b32 s13, s23, s13
	s_add_i32 s19, s11, 1
	s_cmp_ge_u32 s13, s28
	s_cselect_b32 s11, s19, s11
	s_mul_i32 s13, s11, s28
	s_sub_i32 s28, s6, s13
	v_cmp_lt_u64_e32 vcc, s[28:29], v[1:2]
	v_cvt_f32_u32_e32 v1, s20
	s_cbranch_vccnz .LBB0_2
; %bb.1:
	v_rcp_iflag_f32_e32 v2, v1
	s_sub_i32 s13, 0, s20
	v_mul_f32_e32 v2, 0x4f7ffffe, v2
	v_cvt_u32_f32_e32 v2, v2
	v_readfirstlane_b32 s19, v2
	s_mul_i32 s13, s13, s19
	s_mul_hi_u32 s13, s19, s13
	s_add_i32 s19, s19, s13
	s_mul_hi_u32 s13, s28, s19
	s_mul_i32 s23, s13, s20
	s_sub_i32 s23, s28, s23
	s_add_i32 s19, s13, 1
	s_sub_i32 s28, s23, s20
	s_cmp_ge_u32 s23, s20
	s_cselect_b32 s13, s19, s13
	s_cselect_b32 s23, s28, s23
	s_add_i32 s19, s13, 1
	s_cmp_ge_u32 s23, s20
	s_cselect_b32 s30, s19, s13
.LBB0_2:
	v_mov_b32_e32 v2, s20
	v_mov_b32_e32 v3, s21
	v_cmp_lt_u64_e32 vcc, s[6:7], v[2:3]
	s_cbranch_vccnz .LBB0_4
; %bb.3:
	v_rcp_iflag_f32_e32 v1, v1
	s_sub_i32 s7, 0, s20
	v_mul_f32_e32 v1, 0x4f7ffffe, v1
	v_cvt_u32_f32_e32 v1, v1
	v_readfirstlane_b32 s13, v1
	s_mul_i32 s7, s7, s13
	s_mul_hi_u32 s7, s13, s7
	s_add_i32 s13, s13, s7
	s_mul_hi_u32 s7, s6, s13
	s_mul_i32 s7, s7, s20
	s_sub_i32 s6, s6, s7
	s_sub_i32 s7, s6, s20
	s_cmp_ge_u32 s6, s20
	s_cselect_b32 s6, s7, s6
	s_sub_i32 s7, s6, s20
	s_cmp_ge_u32 s6, s20
	s_cselect_b32 s6, s7, s6
.LBB0_4:
	s_load_dwordx2 s[20:21], s[4:5], 0x8
	s_mul_i32 s13, s30, 9
	s_mul_i32 s4, s6, s18
	;; [unrolled: 1-line block ×3, first 2 shown]
	s_add_i32 s4, s4, s5
	s_waitcnt lgkmcnt(0)
	s_lshl_b64 s[18:19], s[20:21], 3
	s_add_u32 s14, s14, s18
	s_addc_u32 s15, s15, s19
	s_load_dwordx2 s[20:21], s[14:15], 0x0
	v_mul_u32_u24_e32 v1, 0x32a, v0
	v_lshrrev_b32_e32 v14, 16, v1
	v_mul_lo_u16_e32 v1, 0x51, v14
	v_sub_u16_e32 v15, v0, v1
	s_waitcnt lgkmcnt(0)
	s_mul_i32 s7, s21, s11
	s_mul_hi_u32 s14, s20, s11
	s_add_i32 s21, s14, s7
	s_add_u32 s14, s26, s18
	s_addc_u32 s15, s27, s19
	s_load_dwordx2 s[14:15], s[14:15], 0x0
	v_mad_u64_u32 v[1:2], s[28:29], s16, v15, 0
	s_mul_i32 s20, s20, s11
	s_mov_b32 s5, 0
	v_mad_u64_u32 v[2:3], s[16:17], s17, v15, v[2:3]
	s_waitcnt lgkmcnt(0)
	s_mul_i32 s7, s15, s11
	s_mul_hi_u32 s15, s14, s11
	s_add_i32 s7, s15, s7
	s_lshl_b64 s[16:17], s[20:21], 3
	s_add_u32 s15, s0, s16
	v_mul_lo_u32 v8, s22, v14
	s_addc_u32 s16, s1, s17
	s_lshl_b64 s[0:1], s[4:5], 3
	s_add_u32 s0, s15, s0
	v_lshlrev_b64 v[1:2], 3, v[1:2]
	s_addc_u32 s1, s16, s1
	v_mov_b32_e32 v9, 0
	v_mov_b32_e32 v3, s1
	v_add_co_u32_e32 v7, vcc, s0, v1
	v_addc_co_u32_e32 v10, vcc, v3, v2, vcc
	v_lshlrev_b64 v[1:2], 3, v[8:9]
	s_mul_i32 s0, s22, 3
	v_add_u32_e32 v8, s0, v8
	v_add_co_u32_e32 v1, vcc, v7, v1
	v_lshlrev_b64 v[3:4], 3, v[8:9]
	v_addc_co_u32_e32 v2, vcc, v10, v2, vcc
	v_add_u32_e32 v8, s0, v8
	v_add_co_u32_e32 v3, vcc, v7, v3
	v_lshlrev_b64 v[5:6], 3, v[8:9]
	v_addc_co_u32_e32 v4, vcc, v10, v4, vcc
	v_add_co_u32_e32 v5, vcc, v7, v5
	v_addc_co_u32_e32 v6, vcc, v10, v6, vcc
	global_load_dwordx2 v[7:8], v[1:2], off
	global_load_dwordx2 v[10:11], v[3:4], off
	;; [unrolled: 1-line block ×3, first 2 shown]
	v_mul_u32_u24_e32 v1, 0x1c72, v0
	v_lshrrev_b32_e32 v16, 16, v1
	v_mul_lo_u16_e32 v1, 9, v16
	v_sub_u16_e32 v17, v0, v1
	v_mul_lo_u16_e32 v1, 9, v15
	v_lshlrev_b32_e32 v2, 3, v14
	v_mul_u32_u24_e32 v3, 0x48, v16
	v_lshlrev_b32_e32 v15, 3, v17
	v_lshlrev_b32_e32 v1, 3, v1
	v_add3_u32 v18, 0, v3, v15
	v_add3_u32 v3, 0, v1, v2
	;; [unrolled: 1-line block ×3, first 2 shown]
	v_mul_lo_u16_e32 v14, 0x56, v16
	s_movk_i32 s0, 0x90
	v_mad_u32_u24 v19, v16, s0, v18
	s_movk_i32 s0, 0x51
	v_mul_u32_u24_e32 v0, 0x10e, v0
	v_mul_lo_u16_sdwa v0, v0, s0 dst_sel:DWORD dst_unused:UNUSED_PAD src0_sel:WORD_1 src1_sel:DWORD
	s_mul_i32 s4, s6, s12
	s_mul_i32 s6, s10, 27
	s_waitcnt vmcnt(2)
	ds_write_b64 v3, v[7:8]
	s_waitcnt vmcnt(0)
	ds_write2_b64 v1, v[10:11], v[12:13] offset0:3 offset1:6
	s_waitcnt lgkmcnt(0)
	s_barrier
	ds_read2_b64 v[1:4], v18 offset1:243
	ds_read_b64 v[5:6], v18 offset:3888
	v_lshrrev_b16_e32 v10, 8, v14
	v_mul_lo_u16_e32 v7, 3, v10
	v_sub_u16_e32 v11, v16, v7
	s_waitcnt lgkmcnt(1)
	v_add_f32_e32 v12, v1, v3
	s_waitcnt lgkmcnt(0)
	v_add_f32_e32 v7, v3, v5
	v_add_f32_e32 v8, v4, v6
	v_fma_f32 v7, -0.5, v7, v1
	v_fma_f32 v8, -0.5, v8, v2
	v_sub_f32_e32 v13, v4, v6
	v_add_f32_e32 v2, v2, v4
	v_sub_f32_e32 v14, v3, v5
	v_and_b32_e32 v11, 0xff, v11
	v_mov_b32_e32 v3, v7
	v_mov_b32_e32 v4, v8
	v_lshlrev_b32_e32 v20, 4, v11
	v_add_f32_e32 v1, v12, v5
	v_add_f32_e32 v2, v2, v6
	v_fmac_f32_e32 v7, 0x3f5db3d7, v13
	v_fmac_f32_e32 v8, 0xbf5db3d7, v14
	;; [unrolled: 1-line block ×4, first 2 shown]
	s_barrier
	ds_write_b64 v19, v[7:8] offset:144
	ds_write2_b64 v19, v[1:2], v[3:4] offset1:9
	s_waitcnt lgkmcnt(0)
	s_barrier
	global_load_dwordx4 v[1:4], v20, s[24:25]
	ds_read_b64 v[5:6], v18 offset:3888
	s_waitcnt vmcnt(0) lgkmcnt(0)
	v_mul_f32_e32 v7, v4, v6
	v_mul_f32_e32 v4, v4, v5
	v_fmac_f32_e32 v7, v3, v5
	v_fma_f32 v8, v3, v6, -v4
	ds_read2_b64 v[3:6], v18 offset1:243
	s_waitcnt lgkmcnt(0)
	s_barrier
	v_mul_f32_e32 v12, v2, v6
	v_mul_f32_e32 v2, v2, v5
	v_fmac_f32_e32 v12, v1, v5
	v_fma_f32 v5, v1, v6, -v2
	v_mul_lo_u16_e32 v6, 29, v16
	v_lshrrev_b16_e32 v13, 8, v6
	v_mul_lo_u16_e32 v6, 9, v13
	v_sub_u16_e32 v6, v16, v6
	v_add_f32_e32 v1, v12, v7
	v_add_f32_e32 v2, v5, v8
	v_and_b32_e32 v14, 0xff, v6
	v_mad_u32_u24 v6, v10, 9, v11
	v_fma_f32 v1, -0.5, v1, v3
	v_fma_f32 v2, -0.5, v2, v4
	v_add_f32_e32 v3, v12, v3
	v_add_f32_e32 v4, v5, v4
	v_mul_u32_u24_e32 v6, 0x48, v6
	v_sub_f32_e32 v19, v5, v8
	v_sub_f32_e32 v12, v12, v7
	v_lshlrev_b32_e32 v10, 4, v14
	v_add3_u32 v11, 0, v6, v15
	v_add_f32_e32 v3, v3, v7
	v_add_f32_e32 v4, v4, v8
	v_mov_b32_e32 v5, v1
	v_fmac_f32_e32 v1, 0x3f5db3d7, v19
	v_mov_b32_e32 v6, v2
	v_fmac_f32_e32 v2, 0xbf5db3d7, v12
	v_fmac_f32_e32 v5, 0xbf5db3d7, v19
	;; [unrolled: 1-line block ×3, first 2 shown]
	ds_write_b64 v11, v[1:2] offset:432
	ds_write2_b64 v11, v[3:4], v[5:6] offset1:27
	s_waitcnt lgkmcnt(0)
	s_barrier
	global_load_dwordx4 v[1:4], v10, s[24:25] offset:48
	v_mul_lo_u16_e32 v6, 19, v16
	v_lshrrev_b16_e32 v6, 9, v6
	v_mul_lo_u16_e32 v6, 27, v6
	v_mov_b32_e32 v5, 4
	v_sub_u16_e32 v12, v16, v6
	v_lshlrev_b32_sdwa v16, v5, v12 dst_sel:DWORD dst_unused:UNUSED_PAD src0_sel:DWORD src1_sel:BYTE_0
	v_mad_u32_u24 v5, v13, 27, v14
	v_mul_u32_u24_e32 v5, 0x48, v5
	v_add3_u32 v13, 0, v5, v15
	ds_read_b64 v[10:11], v18 offset:3888
	ds_read2_b64 v[5:8], v18 offset1:243
	s_waitcnt vmcnt(0) lgkmcnt(0)
	s_barrier
	v_add_u32_sdwa v0, v12, v0 dst_sel:DWORD dst_unused:UNUSED_PAD src0_sel:BYTE_0 src1_sel:DWORD
	v_mul_f32_e32 v14, v4, v11
	v_mul_f32_e32 v4, v4, v10
	v_fmac_f32_e32 v14, v3, v10
	v_fma_f32 v3, v3, v11, -v4
	v_mul_f32_e32 v4, v2, v8
	v_mul_f32_e32 v2, v2, v7
	v_fmac_f32_e32 v4, v1, v7
	v_fma_f32 v1, v1, v8, -v2
	v_add_f32_e32 v2, v4, v5
	v_add_f32_e32 v7, v4, v14
	;; [unrolled: 1-line block ×4, first 2 shown]
	v_sub_f32_e32 v8, v1, v3
	v_sub_f32_e32 v15, v4, v14
	v_add_f32_e32 v1, v2, v14
	v_add_f32_e32 v2, v10, v3
	v_fma_f32 v3, -0.5, v7, v5
	v_fma_f32 v4, -0.5, v11, v6
	v_mov_b32_e32 v5, v3
	v_fmac_f32_e32 v3, 0x3f5db3d7, v8
	v_mov_b32_e32 v6, v4
	v_fmac_f32_e32 v4, 0xbf5db3d7, v15
	v_fmac_f32_e32 v5, 0xbf5db3d7, v8
	;; [unrolled: 1-line block ×3, first 2 shown]
	ds_write_b64 v13, v[3:4] offset:1296
	ds_write2_b64 v13, v[1:2], v[5:6] offset1:81
	s_waitcnt lgkmcnt(0)
	s_barrier
	global_load_dwordx4 v[1:4], v16, s[24:25] offset:192
	v_add_co_u32_e32 v5, vcc, s13, v17
	v_addc_co_u32_e64 v6, s[0:1], 0, 0, vcc
	v_mul_lo_u32 v7, v6, s8
	v_mul_lo_u32 v10, v5, s9
	v_mad_u64_u32 v[5:6], s[0:1], v5, s8, 0
	v_mul_lo_u32 v8, v0, s10
	v_add3_u32 v6, v6, v10, v7
	v_lshlrev_b64 v[5:6], 3, v[5:6]
	v_lshlrev_b64 v[10:11], 3, v[8:9]
	v_add_u32_e32 v8, s6, v8
	v_lshlrev_b64 v[12:13], 3, v[8:9]
	v_add_u32_e32 v8, s6, v8
	s_mul_i32 s6, s14, s11
	s_lshl_b64 s[0:1], s[6:7], 3
	s_add_u32 s2, s2, s0
	s_addc_u32 s3, s3, s1
	s_lshl_b64 s[0:1], s[4:5], 3
	s_add_u32 s0, s2, s0
	s_addc_u32 s1, s3, s1
	v_mov_b32_e32 v0, s1
	v_add_co_u32_e32 v19, vcc, s0, v5
	v_addc_co_u32_e32 v0, vcc, v0, v6, vcc
	v_lshlrev_b64 v[14:15], 3, v[8:9]
	v_add_co_u32_e32 v9, vcc, v19, v10
	ds_read2_b64 v[5:8], v18 offset1:243
	ds_read_b64 v[16:17], v18 offset:3888
	v_addc_co_u32_e32 v10, vcc, v0, v11, vcc
	v_add_co_u32_e32 v11, vcc, v19, v12
	v_addc_co_u32_e32 v12, vcc, v0, v13, vcc
	v_add_co_u32_e32 v13, vcc, v19, v14
	v_addc_co_u32_e32 v14, vcc, v0, v15, vcc
	s_waitcnt vmcnt(0) lgkmcnt(1)
	v_mul_f32_e32 v0, v2, v8
	v_mul_f32_e32 v2, v2, v7
	s_waitcnt lgkmcnt(0)
	v_mul_f32_e32 v15, v4, v17
	v_mul_f32_e32 v4, v4, v16
	v_fmac_f32_e32 v0, v1, v7
	v_fma_f32 v1, v1, v8, -v2
	v_fmac_f32_e32 v15, v3, v16
	v_fma_f32 v3, v3, v17, -v4
	v_add_f32_e32 v2, v0, v5
	v_add_f32_e32 v4, v0, v15
	;; [unrolled: 1-line block ×4, first 2 shown]
	v_sub_f32_e32 v7, v1, v3
	v_sub_f32_e32 v17, v0, v15
	v_add_f32_e32 v0, v2, v15
	v_fma_f32 v2, -0.5, v4, v5
	v_add_f32_e32 v1, v8, v3
	v_fma_f32 v3, -0.5, v16, v6
	v_mov_b32_e32 v4, v2
	v_mov_b32_e32 v5, v3
	v_fmac_f32_e32 v4, 0xbf5db3d7, v7
	v_fmac_f32_e32 v5, 0x3f5db3d7, v17
	;; [unrolled: 1-line block ×4, first 2 shown]
	global_store_dwordx2 v[9:10], v[0:1], off
	global_store_dwordx2 v[11:12], v[4:5], off
	;; [unrolled: 1-line block ×3, first 2 shown]
	s_endpgm
	.section	.rodata,"a",@progbits
	.p2align	6, 0x0
	.amdhsa_kernel fft_rtc_back_len81_factors_3_3_3_3_wgs_243_tpt_27_sp_op_CI_CI_sbrc_xy_z_aligned_dirReg
		.amdhsa_group_segment_fixed_size 0
		.amdhsa_private_segment_fixed_size 0
		.amdhsa_kernarg_size 104
		.amdhsa_user_sgpr_count 6
		.amdhsa_user_sgpr_private_segment_buffer 1
		.amdhsa_user_sgpr_dispatch_ptr 0
		.amdhsa_user_sgpr_queue_ptr 0
		.amdhsa_user_sgpr_kernarg_segment_ptr 1
		.amdhsa_user_sgpr_dispatch_id 0
		.amdhsa_user_sgpr_flat_scratch_init 0
		.amdhsa_user_sgpr_private_segment_size 0
		.amdhsa_uses_dynamic_stack 0
		.amdhsa_system_sgpr_private_segment_wavefront_offset 0
		.amdhsa_system_sgpr_workgroup_id_x 1
		.amdhsa_system_sgpr_workgroup_id_y 0
		.amdhsa_system_sgpr_workgroup_id_z 0
		.amdhsa_system_sgpr_workgroup_info 0
		.amdhsa_system_vgpr_workitem_id 0
		.amdhsa_next_free_vgpr 21
		.amdhsa_next_free_sgpr 32
		.amdhsa_reserve_vcc 1
		.amdhsa_reserve_flat_scratch 0
		.amdhsa_float_round_mode_32 0
		.amdhsa_float_round_mode_16_64 0
		.amdhsa_float_denorm_mode_32 3
		.amdhsa_float_denorm_mode_16_64 3
		.amdhsa_dx10_clamp 1
		.amdhsa_ieee_mode 1
		.amdhsa_fp16_overflow 0
		.amdhsa_exception_fp_ieee_invalid_op 0
		.amdhsa_exception_fp_denorm_src 0
		.amdhsa_exception_fp_ieee_div_zero 0
		.amdhsa_exception_fp_ieee_overflow 0
		.amdhsa_exception_fp_ieee_underflow 0
		.amdhsa_exception_fp_ieee_inexact 0
		.amdhsa_exception_int_div_zero 0
	.end_amdhsa_kernel
	.text
.Lfunc_end0:
	.size	fft_rtc_back_len81_factors_3_3_3_3_wgs_243_tpt_27_sp_op_CI_CI_sbrc_xy_z_aligned_dirReg, .Lfunc_end0-fft_rtc_back_len81_factors_3_3_3_3_wgs_243_tpt_27_sp_op_CI_CI_sbrc_xy_z_aligned_dirReg
                                        ; -- End function
	.section	.AMDGPU.csdata,"",@progbits
; Kernel info:
; codeLenInByte = 1828
; NumSgprs: 36
; NumVgprs: 21
; ScratchSize: 0
; MemoryBound: 0
; FloatMode: 240
; IeeeMode: 1
; LDSByteSize: 0 bytes/workgroup (compile time only)
; SGPRBlocks: 4
; VGPRBlocks: 5
; NumSGPRsForWavesPerEU: 36
; NumVGPRsForWavesPerEU: 21
; Occupancy: 10
; WaveLimiterHint : 1
; COMPUTE_PGM_RSRC2:SCRATCH_EN: 0
; COMPUTE_PGM_RSRC2:USER_SGPR: 6
; COMPUTE_PGM_RSRC2:TRAP_HANDLER: 0
; COMPUTE_PGM_RSRC2:TGID_X_EN: 1
; COMPUTE_PGM_RSRC2:TGID_Y_EN: 0
; COMPUTE_PGM_RSRC2:TGID_Z_EN: 0
; COMPUTE_PGM_RSRC2:TIDIG_COMP_CNT: 0
	.type	__hip_cuid_1257a1eda2fa0c08,@object ; @__hip_cuid_1257a1eda2fa0c08
	.section	.bss,"aw",@nobits
	.globl	__hip_cuid_1257a1eda2fa0c08
__hip_cuid_1257a1eda2fa0c08:
	.byte	0                               ; 0x0
	.size	__hip_cuid_1257a1eda2fa0c08, 1

	.ident	"AMD clang version 19.0.0git (https://github.com/RadeonOpenCompute/llvm-project roc-6.4.0 25133 c7fe45cf4b819c5991fe208aaa96edf142730f1d)"
	.section	".note.GNU-stack","",@progbits
	.addrsig
	.addrsig_sym __hip_cuid_1257a1eda2fa0c08
	.amdgpu_metadata
---
amdhsa.kernels:
  - .args:
      - .actual_access:  read_only
        .address_space:  global
        .offset:         0
        .size:           8
        .value_kind:     global_buffer
      - .offset:         8
        .size:           8
        .value_kind:     by_value
      - .actual_access:  read_only
        .address_space:  global
        .offset:         16
        .size:           8
        .value_kind:     global_buffer
      - .actual_access:  read_only
        .address_space:  global
        .offset:         24
        .size:           8
        .value_kind:     global_buffer
      - .actual_access:  read_only
        .address_space:  global
        .offset:         32
        .size:           8
        .value_kind:     global_buffer
      - .offset:         40
        .size:           8
        .value_kind:     by_value
      - .actual_access:  read_only
        .address_space:  global
        .offset:         48
        .size:           8
        .value_kind:     global_buffer
      - .actual_access:  read_only
        .address_space:  global
        .offset:         56
        .size:           8
        .value_kind:     global_buffer
      - .offset:         64
        .size:           4
        .value_kind:     by_value
      - .actual_access:  read_only
        .address_space:  global
        .offset:         72
        .size:           8
        .value_kind:     global_buffer
      - .actual_access:  read_only
        .address_space:  global
        .offset:         80
        .size:           8
        .value_kind:     global_buffer
      - .actual_access:  read_only
        .address_space:  global
        .offset:         88
        .size:           8
        .value_kind:     global_buffer
      - .actual_access:  write_only
        .address_space:  global
        .offset:         96
        .size:           8
        .value_kind:     global_buffer
    .group_segment_fixed_size: 0
    .kernarg_segment_align: 8
    .kernarg_segment_size: 104
    .language:       OpenCL C
    .language_version:
      - 2
      - 0
    .max_flat_workgroup_size: 243
    .name:           fft_rtc_back_len81_factors_3_3_3_3_wgs_243_tpt_27_sp_op_CI_CI_sbrc_xy_z_aligned_dirReg
    .private_segment_fixed_size: 0
    .sgpr_count:     36
    .sgpr_spill_count: 0
    .symbol:         fft_rtc_back_len81_factors_3_3_3_3_wgs_243_tpt_27_sp_op_CI_CI_sbrc_xy_z_aligned_dirReg.kd
    .uniform_work_group_size: 1
    .uses_dynamic_stack: false
    .vgpr_count:     21
    .vgpr_spill_count: 0
    .wavefront_size: 64
amdhsa.target:   amdgcn-amd-amdhsa--gfx906
amdhsa.version:
  - 1
  - 2
...

	.end_amdgpu_metadata
